;; amdgpu-corpus repo=ROCm/rocFFT kind=compiled arch=gfx1201 opt=O3
	.text
	.amdgcn_target "amdgcn-amd-amdhsa--gfx1201"
	.amdhsa_code_object_version 6
	.protected	fft_rtc_back_len800_factors_16_5_10_wgs_160_tpt_160_halfLds_dp_op_CI_CI_unitstride_sbrr_C2R_dirReg ; -- Begin function fft_rtc_back_len800_factors_16_5_10_wgs_160_tpt_160_halfLds_dp_op_CI_CI_unitstride_sbrr_C2R_dirReg
	.globl	fft_rtc_back_len800_factors_16_5_10_wgs_160_tpt_160_halfLds_dp_op_CI_CI_unitstride_sbrr_C2R_dirReg
	.p2align	8
	.type	fft_rtc_back_len800_factors_16_5_10_wgs_160_tpt_160_halfLds_dp_op_CI_CI_unitstride_sbrr_C2R_dirReg,@function
fft_rtc_back_len800_factors_16_5_10_wgs_160_tpt_160_halfLds_dp_op_CI_CI_unitstride_sbrr_C2R_dirReg: ; @fft_rtc_back_len800_factors_16_5_10_wgs_160_tpt_160_halfLds_dp_op_CI_CI_unitstride_sbrr_C2R_dirReg
; %bb.0:
	s_clause 0x2
	s_load_b128 s[8:11], s[0:1], 0x0
	s_load_b128 s[4:7], s[0:1], 0x58
	;; [unrolled: 1-line block ×3, first 2 shown]
	v_mul_u32_u24_e32 v1, 0x19a, v0
	v_mov_b32_e32 v3, 0
	s_delay_alu instid0(VALU_DEP_2) | instskip(NEXT) | instid1(VALU_DEP_1)
	v_lshrrev_b32_e32 v1, 16, v1
	v_add_nc_u32_e32 v5, ttmp9, v1
	v_mov_b32_e32 v1, 0
	v_mov_b32_e32 v2, 0
	;; [unrolled: 1-line block ×3, first 2 shown]
	s_wait_kmcnt 0x0
	v_cmp_lt_u64_e64 s2, s[10:11], 2
	s_delay_alu instid0(VALU_DEP_1)
	s_and_b32 vcc_lo, exec_lo, s2
	s_cbranch_vccnz .LBB0_8
; %bb.1:
	s_load_b64 s[2:3], s[0:1], 0x10
	v_mov_b32_e32 v1, 0
	v_mov_b32_e32 v2, 0
	s_add_nc_u64 s[16:17], s[14:15], 8
	s_add_nc_u64 s[18:19], s[12:13], 8
	s_mov_b64 s[20:21], 1
	s_delay_alu instid0(VALU_DEP_1)
	v_dual_mov_b32 v41, v2 :: v_dual_mov_b32 v40, v1
	s_wait_kmcnt 0x0
	s_add_nc_u64 s[22:23], s[2:3], 8
	s_mov_b32 s3, 0
.LBB0_2:                                ; =>This Inner Loop Header: Depth=1
	s_load_b64 s[24:25], s[22:23], 0x0
                                        ; implicit-def: $vgpr42_vgpr43
	s_mov_b32 s2, exec_lo
	s_wait_kmcnt 0x0
	v_or_b32_e32 v4, s25, v6
	s_delay_alu instid0(VALU_DEP_1)
	v_cmpx_ne_u64_e32 0, v[3:4]
	s_wait_alu 0xfffe
	s_xor_b32 s26, exec_lo, s2
	s_cbranch_execz .LBB0_4
; %bb.3:                                ;   in Loop: Header=BB0_2 Depth=1
	s_cvt_f32_u32 s2, s24
	s_cvt_f32_u32 s27, s25
	s_sub_nc_u64 s[30:31], 0, s[24:25]
	s_wait_alu 0xfffe
	s_delay_alu instid0(SALU_CYCLE_1) | instskip(SKIP_1) | instid1(SALU_CYCLE_2)
	s_fmamk_f32 s2, s27, 0x4f800000, s2
	s_wait_alu 0xfffe
	v_s_rcp_f32 s2, s2
	s_delay_alu instid0(TRANS32_DEP_1) | instskip(SKIP_1) | instid1(SALU_CYCLE_2)
	s_mul_f32 s2, s2, 0x5f7ffffc
	s_wait_alu 0xfffe
	s_mul_f32 s27, s2, 0x2f800000
	s_wait_alu 0xfffe
	s_delay_alu instid0(SALU_CYCLE_2) | instskip(SKIP_1) | instid1(SALU_CYCLE_2)
	s_trunc_f32 s27, s27
	s_wait_alu 0xfffe
	s_fmamk_f32 s2, s27, 0xcf800000, s2
	s_cvt_u32_f32 s29, s27
	s_wait_alu 0xfffe
	s_delay_alu instid0(SALU_CYCLE_1) | instskip(SKIP_1) | instid1(SALU_CYCLE_2)
	s_cvt_u32_f32 s28, s2
	s_wait_alu 0xfffe
	s_mul_u64 s[34:35], s[30:31], s[28:29]
	s_wait_alu 0xfffe
	s_mul_hi_u32 s37, s28, s35
	s_mul_i32 s36, s28, s35
	s_mul_hi_u32 s2, s28, s34
	s_mul_i32 s33, s29, s34
	s_wait_alu 0xfffe
	s_add_nc_u64 s[36:37], s[2:3], s[36:37]
	s_mul_hi_u32 s27, s29, s34
	s_mul_hi_u32 s38, s29, s35
	s_add_co_u32 s2, s36, s33
	s_wait_alu 0xfffe
	s_add_co_ci_u32 s2, s37, s27
	s_mul_i32 s34, s29, s35
	s_add_co_ci_u32 s35, s38, 0
	s_wait_alu 0xfffe
	s_add_nc_u64 s[34:35], s[2:3], s[34:35]
	s_wait_alu 0xfffe
	v_add_co_u32 v4, s2, s28, s34
	s_delay_alu instid0(VALU_DEP_1) | instskip(SKIP_1) | instid1(VALU_DEP_1)
	s_cmp_lg_u32 s2, 0
	s_add_co_ci_u32 s29, s29, s35
	v_readfirstlane_b32 s28, v4
	s_wait_alu 0xfffe
	s_delay_alu instid0(VALU_DEP_1)
	s_mul_u64 s[30:31], s[30:31], s[28:29]
	s_wait_alu 0xfffe
	s_mul_hi_u32 s35, s28, s31
	s_mul_i32 s34, s28, s31
	s_mul_hi_u32 s2, s28, s30
	s_mul_i32 s33, s29, s30
	s_wait_alu 0xfffe
	s_add_nc_u64 s[34:35], s[2:3], s[34:35]
	s_mul_hi_u32 s27, s29, s30
	s_mul_hi_u32 s28, s29, s31
	s_wait_alu 0xfffe
	s_add_co_u32 s2, s34, s33
	s_add_co_ci_u32 s2, s35, s27
	s_mul_i32 s30, s29, s31
	s_add_co_ci_u32 s31, s28, 0
	s_wait_alu 0xfffe
	s_add_nc_u64 s[30:31], s[2:3], s[30:31]
	s_wait_alu 0xfffe
	v_add_co_u32 v4, s2, v4, s30
	s_delay_alu instid0(VALU_DEP_1) | instskip(SKIP_1) | instid1(VALU_DEP_1)
	s_cmp_lg_u32 s2, 0
	s_add_co_ci_u32 s2, s29, s31
	v_mul_hi_u32 v13, v5, v4
	s_wait_alu 0xfffe
	v_mad_co_u64_u32 v[7:8], null, v5, s2, 0
	v_mad_co_u64_u32 v[9:10], null, v6, v4, 0
	;; [unrolled: 1-line block ×3, first 2 shown]
	s_delay_alu instid0(VALU_DEP_3) | instskip(SKIP_1) | instid1(VALU_DEP_4)
	v_add_co_u32 v4, vcc_lo, v13, v7
	s_wait_alu 0xfffd
	v_add_co_ci_u32_e32 v7, vcc_lo, 0, v8, vcc_lo
	s_delay_alu instid0(VALU_DEP_2) | instskip(SKIP_1) | instid1(VALU_DEP_2)
	v_add_co_u32 v4, vcc_lo, v4, v9
	s_wait_alu 0xfffd
	v_add_co_ci_u32_e32 v4, vcc_lo, v7, v10, vcc_lo
	s_wait_alu 0xfffd
	v_add_co_ci_u32_e32 v7, vcc_lo, 0, v12, vcc_lo
	s_delay_alu instid0(VALU_DEP_2) | instskip(SKIP_1) | instid1(VALU_DEP_2)
	v_add_co_u32 v4, vcc_lo, v4, v11
	s_wait_alu 0xfffd
	v_add_co_ci_u32_e32 v9, vcc_lo, 0, v7, vcc_lo
	s_delay_alu instid0(VALU_DEP_2) | instskip(SKIP_1) | instid1(VALU_DEP_3)
	v_mul_lo_u32 v10, s25, v4
	v_mad_co_u64_u32 v[7:8], null, s24, v4, 0
	v_mul_lo_u32 v11, s24, v9
	s_delay_alu instid0(VALU_DEP_2) | instskip(NEXT) | instid1(VALU_DEP_2)
	v_sub_co_u32 v7, vcc_lo, v5, v7
	v_add3_u32 v8, v8, v11, v10
	s_delay_alu instid0(VALU_DEP_1) | instskip(SKIP_1) | instid1(VALU_DEP_1)
	v_sub_nc_u32_e32 v10, v6, v8
	s_wait_alu 0xfffd
	v_subrev_co_ci_u32_e64 v10, s2, s25, v10, vcc_lo
	v_add_co_u32 v11, s2, v4, 2
	s_wait_alu 0xf1ff
	v_add_co_ci_u32_e64 v12, s2, 0, v9, s2
	v_sub_co_u32 v13, s2, v7, s24
	v_sub_co_ci_u32_e32 v8, vcc_lo, v6, v8, vcc_lo
	s_wait_alu 0xf1ff
	v_subrev_co_ci_u32_e64 v10, s2, 0, v10, s2
	s_delay_alu instid0(VALU_DEP_3) | instskip(NEXT) | instid1(VALU_DEP_3)
	v_cmp_le_u32_e32 vcc_lo, s24, v13
	v_cmp_eq_u32_e64 s2, s25, v8
	s_wait_alu 0xfffd
	v_cndmask_b32_e64 v13, 0, -1, vcc_lo
	v_cmp_le_u32_e32 vcc_lo, s25, v10
	s_wait_alu 0xfffd
	v_cndmask_b32_e64 v14, 0, -1, vcc_lo
	v_cmp_le_u32_e32 vcc_lo, s24, v7
	;; [unrolled: 3-line block ×3, first 2 shown]
	s_wait_alu 0xfffd
	v_cndmask_b32_e64 v15, 0, -1, vcc_lo
	v_cmp_eq_u32_e32 vcc_lo, s25, v10
	s_wait_alu 0xf1ff
	s_delay_alu instid0(VALU_DEP_2)
	v_cndmask_b32_e64 v7, v15, v7, s2
	s_wait_alu 0xfffd
	v_cndmask_b32_e32 v10, v14, v13, vcc_lo
	v_add_co_u32 v13, vcc_lo, v4, 1
	s_wait_alu 0xfffd
	v_add_co_ci_u32_e32 v14, vcc_lo, 0, v9, vcc_lo
	s_delay_alu instid0(VALU_DEP_3) | instskip(SKIP_1) | instid1(VALU_DEP_2)
	v_cmp_ne_u32_e32 vcc_lo, 0, v10
	s_wait_alu 0xfffd
	v_cndmask_b32_e32 v8, v14, v12, vcc_lo
	v_cndmask_b32_e32 v10, v13, v11, vcc_lo
	v_cmp_ne_u32_e32 vcc_lo, 0, v7
	s_wait_alu 0xfffd
	s_delay_alu instid0(VALU_DEP_2)
	v_dual_cndmask_b32 v43, v9, v8 :: v_dual_cndmask_b32 v42, v4, v10
.LBB0_4:                                ;   in Loop: Header=BB0_2 Depth=1
	s_wait_alu 0xfffe
	s_and_not1_saveexec_b32 s2, s26
	s_cbranch_execz .LBB0_6
; %bb.5:                                ;   in Loop: Header=BB0_2 Depth=1
	v_cvt_f32_u32_e32 v4, s24
	s_sub_co_i32 s26, 0, s24
	v_mov_b32_e32 v43, v3
	s_delay_alu instid0(VALU_DEP_2) | instskip(NEXT) | instid1(TRANS32_DEP_1)
	v_rcp_iflag_f32_e32 v4, v4
	v_mul_f32_e32 v4, 0x4f7ffffe, v4
	s_delay_alu instid0(VALU_DEP_1) | instskip(SKIP_1) | instid1(VALU_DEP_1)
	v_cvt_u32_f32_e32 v4, v4
	s_wait_alu 0xfffe
	v_mul_lo_u32 v7, s26, v4
	s_delay_alu instid0(VALU_DEP_1) | instskip(NEXT) | instid1(VALU_DEP_1)
	v_mul_hi_u32 v7, v4, v7
	v_add_nc_u32_e32 v4, v4, v7
	s_delay_alu instid0(VALU_DEP_1) | instskip(NEXT) | instid1(VALU_DEP_1)
	v_mul_hi_u32 v4, v5, v4
	v_mul_lo_u32 v7, v4, s24
	v_add_nc_u32_e32 v8, 1, v4
	s_delay_alu instid0(VALU_DEP_2) | instskip(NEXT) | instid1(VALU_DEP_1)
	v_sub_nc_u32_e32 v7, v5, v7
	v_subrev_nc_u32_e32 v9, s24, v7
	v_cmp_le_u32_e32 vcc_lo, s24, v7
	s_wait_alu 0xfffd
	s_delay_alu instid0(VALU_DEP_2) | instskip(NEXT) | instid1(VALU_DEP_1)
	v_dual_cndmask_b32 v7, v7, v9 :: v_dual_cndmask_b32 v4, v4, v8
	v_cmp_le_u32_e32 vcc_lo, s24, v7
	s_delay_alu instid0(VALU_DEP_2) | instskip(SKIP_1) | instid1(VALU_DEP_1)
	v_add_nc_u32_e32 v8, 1, v4
	s_wait_alu 0xfffd
	v_cndmask_b32_e32 v42, v4, v8, vcc_lo
.LBB0_6:                                ;   in Loop: Header=BB0_2 Depth=1
	s_wait_alu 0xfffe
	s_or_b32 exec_lo, exec_lo, s2
	v_mul_lo_u32 v4, v43, s24
	s_delay_alu instid0(VALU_DEP_2)
	v_mul_lo_u32 v9, v42, s25
	s_load_b64 s[26:27], s[18:19], 0x0
	v_mad_co_u64_u32 v[7:8], null, v42, s24, 0
	s_load_b64 s[24:25], s[16:17], 0x0
	s_add_nc_u64 s[20:21], s[20:21], 1
	s_add_nc_u64 s[16:17], s[16:17], 8
	s_wait_alu 0xfffe
	v_cmp_ge_u64_e64 s2, s[20:21], s[10:11]
	s_add_nc_u64 s[18:19], s[18:19], 8
	s_add_nc_u64 s[22:23], s[22:23], 8
	v_add3_u32 v4, v8, v9, v4
	v_sub_co_u32 v5, vcc_lo, v5, v7
	s_wait_alu 0xfffd
	s_delay_alu instid0(VALU_DEP_2) | instskip(SKIP_2) | instid1(VALU_DEP_1)
	v_sub_co_ci_u32_e32 v4, vcc_lo, v6, v4, vcc_lo
	s_and_b32 vcc_lo, exec_lo, s2
	s_wait_kmcnt 0x0
	v_mul_lo_u32 v6, s26, v4
	v_mul_lo_u32 v7, s27, v5
	v_mad_co_u64_u32 v[1:2], null, s26, v5, v[1:2]
	v_mul_lo_u32 v4, s24, v4
	v_mul_lo_u32 v8, s25, v5
	v_mad_co_u64_u32 v[40:41], null, s24, v5, v[40:41]
	s_delay_alu instid0(VALU_DEP_4) | instskip(NEXT) | instid1(VALU_DEP_2)
	v_add3_u32 v2, v7, v2, v6
	v_add3_u32 v41, v8, v41, v4
	s_wait_alu 0xfffe
	s_cbranch_vccnz .LBB0_9
; %bb.7:                                ;   in Loop: Header=BB0_2 Depth=1
	v_dual_mov_b32 v5, v42 :: v_dual_mov_b32 v6, v43
	s_branch .LBB0_2
.LBB0_8:
	v_dual_mov_b32 v41, v2 :: v_dual_mov_b32 v40, v1
	v_dual_mov_b32 v43, v6 :: v_dual_mov_b32 v42, v5
.LBB0_9:
	s_load_b64 s[0:1], s[0:1], 0x28
	v_mul_hi_u32 v3, 0x199999a, v0
	s_lshl_b64 s[10:11], s[10:11], 3
                                        ; implicit-def: $vgpr44
	s_wait_alu 0xfffe
	s_add_nc_u64 s[2:3], s[14:15], s[10:11]
	s_wait_kmcnt 0x0
	v_cmp_gt_u64_e32 vcc_lo, s[0:1], v[42:43]
	v_cmp_le_u64_e64 s0, s[0:1], v[42:43]
	s_delay_alu instid0(VALU_DEP_1)
	s_and_saveexec_b32 s1, s0
	s_wait_alu 0xfffe
	s_xor_b32 s0, exec_lo, s1
; %bb.10:
	v_mul_u32_u24_e32 v1, 0xa0, v3
                                        ; implicit-def: $vgpr3
	s_delay_alu instid0(VALU_DEP_1)
	v_sub_nc_u32_e32 v44, v0, v1
                                        ; implicit-def: $vgpr0
                                        ; implicit-def: $vgpr1_vgpr2
; %bb.11:
	s_wait_alu 0xfffe
	s_or_saveexec_b32 s1, s0
	s_load_b64 s[2:3], s[2:3], 0x0
	s_xor_b32 exec_lo, exec_lo, s1
	s_cbranch_execz .LBB0_15
; %bb.12:
	s_add_nc_u64 s[10:11], s[12:13], s[10:11]
	v_lshlrev_b64_e32 v[1:2], 4, v[1:2]
	s_load_b64 s[10:11], s[10:11], 0x0
	s_wait_kmcnt 0x0
	v_mul_lo_u32 v6, s11, v42
	v_mul_lo_u32 v7, s10, v43
	v_mad_co_u64_u32 v[4:5], null, s10, v42, 0
	s_delay_alu instid0(VALU_DEP_1) | instskip(SKIP_1) | instid1(VALU_DEP_2)
	v_add3_u32 v5, v5, v7, v6
	v_mul_u32_u24_e32 v6, 0xa0, v3
	v_lshlrev_b64_e32 v[3:4], 4, v[4:5]
	s_delay_alu instid0(VALU_DEP_2) | instskip(NEXT) | instid1(VALU_DEP_1)
	v_sub_nc_u32_e32 v44, v0, v6
	v_lshlrev_b32_e32 v22, 4, v44
	s_delay_alu instid0(VALU_DEP_3) | instskip(SKIP_1) | instid1(VALU_DEP_4)
	v_add_co_u32 v0, s0, s4, v3
	s_wait_alu 0xf1ff
	v_add_co_ci_u32_e64 v3, s0, s5, v4, s0
	s_mov_b32 s4, exec_lo
	s_delay_alu instid0(VALU_DEP_2) | instskip(SKIP_1) | instid1(VALU_DEP_2)
	v_add_co_u32 v0, s0, v0, v1
	s_wait_alu 0xf1ff
	v_add_co_ci_u32_e64 v1, s0, v3, v2, s0
	s_delay_alu instid0(VALU_DEP_2) | instskip(SKIP_1) | instid1(VALU_DEP_2)
	v_add_co_u32 v18, s0, v0, v22
	s_wait_alu 0xf1ff
	v_add_co_ci_u32_e64 v19, s0, 0, v1, s0
	s_clause 0x4
	global_load_b128 v[2:5], v[18:19], off
	global_load_b128 v[6:9], v[18:19], off offset:2560
	global_load_b128 v[10:13], v[18:19], off offset:5120
	global_load_b128 v[14:17], v[18:19], off offset:7680
	global_load_b128 v[18:21], v[18:19], off offset:10240
	v_add_nc_u32_e32 v22, 0, v22
	s_wait_loadcnt 0x4
	ds_store_b128 v22, v[2:5]
	s_wait_loadcnt 0x3
	ds_store_b128 v22, v[6:9] offset:2560
	s_wait_loadcnt 0x2
	ds_store_b128 v22, v[10:13] offset:5120
	;; [unrolled: 2-line block ×4, first 2 shown]
	v_cmpx_eq_u32_e32 0x9f, v44
	s_cbranch_execz .LBB0_14
; %bb.13:
	global_load_b128 v[0:3], v[0:1], off offset:12800
	v_mov_b32_e32 v4, 0
	v_mov_b32_e32 v44, 0x9f
	s_wait_loadcnt 0x0
	ds_store_b128 v4, v[0:3] offset:12800
.LBB0_14:
	s_wait_alu 0xfffe
	s_or_b32 exec_lo, exec_lo, s4
.LBB0_15:
	s_delay_alu instid0(SALU_CYCLE_1)
	s_or_b32 exec_lo, exec_lo, s1
	v_lshlrev_b32_e32 v0, 4, v44
	global_wb scope:SCOPE_SE
	s_wait_dscnt 0x0
	s_wait_kmcnt 0x0
	s_barrier_signal -1
	s_barrier_wait -1
	global_inv scope:SCOPE_SE
	v_add_nc_u32_e32 v85, 0, v0
	v_sub_nc_u32_e32 v10, 0, v0
	s_mov_b32 s1, exec_lo
                                        ; implicit-def: $vgpr4_vgpr5
	ds_load_b64 v[6:7], v85
	ds_load_b64 v[8:9], v10 offset:12800
	s_wait_dscnt 0x0
	v_add_f64_e32 v[0:1], v[6:7], v[8:9]
	v_add_f64_e64 v[2:3], v[6:7], -v[8:9]
	v_cmpx_ne_u32_e32 0, v44
	s_wait_alu 0xfffe
	s_xor_b32 s1, exec_lo, s1
	s_cbranch_execz .LBB0_17
; %bb.16:
	v_mov_b32_e32 v45, 0
	v_add_f64_e32 v[13:14], v[6:7], v[8:9]
	v_add_f64_e64 v[15:16], v[6:7], -v[8:9]
	s_delay_alu instid0(VALU_DEP_3) | instskip(NEXT) | instid1(VALU_DEP_1)
	v_lshlrev_b64_e32 v[0:1], 4, v[44:45]
	v_add_co_u32 v0, s0, s8, v0
	s_wait_alu 0xf1ff
	s_delay_alu instid0(VALU_DEP_2)
	v_add_co_ci_u32_e64 v1, s0, s9, v1, s0
	global_load_b128 v[2:5], v[0:1], off offset:12544
	ds_load_b64 v[0:1], v10 offset:12808
	ds_load_b64 v[11:12], v85 offset:8
	s_wait_dscnt 0x0
	v_add_f64_e32 v[6:7], v[0:1], v[11:12]
	v_add_f64_e64 v[0:1], v[11:12], -v[0:1]
	s_wait_loadcnt 0x0
	v_fma_f64 v[8:9], v[15:16], v[4:5], v[13:14]
	v_fma_f64 v[11:12], -v[15:16], v[4:5], v[13:14]
	s_delay_alu instid0(VALU_DEP_3) | instskip(SKIP_1) | instid1(VALU_DEP_4)
	v_fma_f64 v[13:14], v[6:7], v[4:5], -v[0:1]
	v_fma_f64 v[4:5], v[6:7], v[4:5], v[0:1]
	v_fma_f64 v[0:1], -v[6:7], v[2:3], v[8:9]
	s_delay_alu instid0(VALU_DEP_4) | instskip(NEXT) | instid1(VALU_DEP_4)
	v_fma_f64 v[6:7], v[6:7], v[2:3], v[11:12]
	v_fma_f64 v[8:9], v[15:16], v[2:3], v[13:14]
	s_delay_alu instid0(VALU_DEP_4)
	v_fma_f64 v[2:3], v[15:16], v[2:3], v[4:5]
	v_dual_mov_b32 v4, v44 :: v_dual_mov_b32 v5, v45
	ds_store_b128 v10, v[6:9] offset:12800
.LBB0_17:
	s_wait_alu 0xfffe
	s_and_not1_saveexec_b32 s0, s1
	s_cbranch_execz .LBB0_19
; %bb.18:
	v_mov_b32_e32 v8, 0
	ds_load_b128 v[4:7], v8 offset:6400
	s_wait_dscnt 0x0
	v_add_f64_e32 v[11:12], v[4:5], v[4:5]
	v_mul_f64_e32 v[13:14], -2.0, v[6:7]
	v_mov_b32_e32 v4, 0
	v_mov_b32_e32 v5, 0
	ds_store_b128 v8, v[11:14] offset:6400
.LBB0_19:
	s_wait_alu 0xfffe
	s_or_b32 exec_lo, exec_lo, s0
	v_lshlrev_b64_e32 v[4:5], 4, v[4:5]
	s_add_nc_u64 s[0:1], s[8:9], 0x3100
	ds_store_b128 v85, v[0:3]
	s_wait_alu 0xfffe
	v_add_co_u32 v4, s0, s0, v4
	s_wait_alu 0xf1ff
	v_add_co_ci_u32_e64 v5, s0, s1, v5, s0
	v_cmp_gt_u32_e64 s0, 0x50, v44
	global_load_b128 v[6:9], v[4:5], off offset:2560
	ds_load_b128 v[0:3], v85 offset:2560
	ds_load_b128 v[11:14], v10 offset:10240
	s_wait_dscnt 0x0
	v_add_f64_e32 v[15:16], v[0:1], v[11:12]
	v_add_f64_e32 v[17:18], v[13:14], v[2:3]
	v_add_f64_e64 v[19:20], v[0:1], -v[11:12]
	v_add_f64_e64 v[0:1], v[2:3], -v[13:14]
	s_wait_loadcnt 0x0
	s_delay_alu instid0(VALU_DEP_2) | instskip(NEXT) | instid1(VALU_DEP_2)
	v_fma_f64 v[2:3], v[19:20], v[8:9], v[15:16]
	v_fma_f64 v[11:12], v[17:18], v[8:9], v[0:1]
	v_fma_f64 v[13:14], -v[19:20], v[8:9], v[15:16]
	v_fma_f64 v[8:9], v[17:18], v[8:9], -v[0:1]
	s_delay_alu instid0(VALU_DEP_4) | instskip(NEXT) | instid1(VALU_DEP_4)
	v_fma_f64 v[0:1], -v[17:18], v[6:7], v[2:3]
	v_fma_f64 v[2:3], v[19:20], v[6:7], v[11:12]
	s_delay_alu instid0(VALU_DEP_4) | instskip(NEXT) | instid1(VALU_DEP_4)
	v_fma_f64 v[11:12], v[17:18], v[6:7], v[13:14]
	v_fma_f64 v[13:14], v[19:20], v[6:7], v[8:9]
	ds_store_b128 v85, v[0:3] offset:2560
	ds_store_b128 v10, v[11:14] offset:10240
	s_and_saveexec_b32 s1, s0
	s_cbranch_execz .LBB0_21
; %bb.20:
	global_load_b128 v[0:3], v[4:5], off offset:5120
	ds_load_b128 v[4:7], v85 offset:5120
	ds_load_b128 v[11:14], v10 offset:7680
	s_wait_dscnt 0x0
	v_add_f64_e32 v[8:9], v[4:5], v[11:12]
	v_add_f64_e32 v[15:16], v[13:14], v[6:7]
	v_add_f64_e64 v[11:12], v[4:5], -v[11:12]
	v_add_f64_e64 v[4:5], v[6:7], -v[13:14]
	s_wait_loadcnt 0x0
	s_delay_alu instid0(VALU_DEP_2) | instskip(NEXT) | instid1(VALU_DEP_2)
	v_fma_f64 v[6:7], v[11:12], v[2:3], v[8:9]
	v_fma_f64 v[13:14], v[15:16], v[2:3], v[4:5]
	v_fma_f64 v[8:9], -v[11:12], v[2:3], v[8:9]
	v_fma_f64 v[17:18], v[15:16], v[2:3], -v[4:5]
	s_delay_alu instid0(VALU_DEP_4) | instskip(NEXT) | instid1(VALU_DEP_4)
	v_fma_f64 v[2:3], -v[15:16], v[0:1], v[6:7]
	v_fma_f64 v[4:5], v[11:12], v[0:1], v[13:14]
	s_delay_alu instid0(VALU_DEP_4) | instskip(NEXT) | instid1(VALU_DEP_4)
	v_fma_f64 v[6:7], v[15:16], v[0:1], v[8:9]
	v_fma_f64 v[8:9], v[11:12], v[0:1], v[17:18]
	ds_store_b128 v85, v[2:5] offset:5120
	ds_store_b128 v10, v[6:9] offset:7680
.LBB0_21:
	s_wait_alu 0xfffe
	s_or_b32 exec_lo, exec_lo, s1
	global_wb scope:SCOPE_SE
	s_wait_dscnt 0x0
	s_barrier_signal -1
	s_barrier_wait -1
	global_inv scope:SCOPE_SE
	global_wb scope:SCOPE_SE
	s_barrier_signal -1
	s_barrier_wait -1
	global_inv scope:SCOPE_SE
	ds_load_b128 v[0:3], v85 offset:6400
	ds_load_b128 v[4:7], v85
	ds_load_b128 v[8:11], v85 offset:3200
	ds_load_b128 v[12:15], v85 offset:9600
	;; [unrolled: 1-line block ×14, first 2 shown]
	s_mov_b32 s4, 0x667f3bcd
	s_mov_b32 s5, 0xbfe6a09e
	;; [unrolled: 1-line block ×3, first 2 shown]
	s_wait_alu 0xfffe
	s_mov_b32 s10, s4
	s_mov_b32 s12, 0xcf328d46
	s_wait_dscnt 0xe
	v_add_f64_e64 v[0:1], v[4:5], -v[0:1]
	v_add_f64_e64 v[2:3], v[6:7], -v[2:3]
	s_wait_dscnt 0xc
	v_add_f64_e64 v[12:13], v[8:9], -v[12:13]
	v_add_f64_e64 v[14:15], v[10:11], -v[14:15]
	;; [unrolled: 3-line block ×8, first 2 shown]
	s_mov_b32 s18, 0xa6aea964
	s_mov_b32 s13, 0xbfed906b
	;; [unrolled: 1-line block ×7, first 2 shown]
	global_wb scope:SCOPE_SE
	s_barrier_signal -1
	s_barrier_wait -1
	global_inv scope:SCOPE_SE
	v_fma_f64 v[4:5], v[4:5], 2.0, -v[0:1]
	v_fma_f64 v[6:7], v[6:7], 2.0, -v[2:3]
	v_add_f64_e64 v[34:35], v[2:3], -v[12:13]
	v_add_f64_e32 v[32:33], v[0:1], v[14:15]
	v_fma_f64 v[8:9], v[8:9], 2.0, -v[12:13]
	v_fma_f64 v[10:11], v[10:11], 2.0, -v[14:15]
	v_add_f64_e64 v[79:80], v[22:23], -v[28:29]
	v_add_f64_e32 v[77:78], v[20:21], v[30:31]
	;; [unrolled: 4-line block ×3, first 2 shown]
	v_fma_f64 v[16:17], v[24:25], 2.0, -v[28:29]
	v_fma_f64 v[18:19], v[26:27], 2.0, -v[30:31]
	v_add_f64_e32 v[83:84], v[57:58], v[67:68]
	v_add_f64_e64 v[81:82], v[59:60], -v[65:66]
	v_fma_f64 v[24:25], v[45:46], 2.0, -v[69:70]
	v_fma_f64 v[26:27], v[47:48], 2.0, -v[71:72]
	;; [unrolled: 1-line block ×10, first 2 shown]
	v_add_f64_e64 v[45:46], v[4:5], -v[8:9]
	v_add_f64_e64 v[47:48], v[6:7], -v[10:11]
	v_fma_f64 v[22:23], v[22:23], 2.0, -v[79:80]
	v_fma_f64 v[20:21], v[20:21], 2.0, -v[77:78]
	s_wait_alu 0xfffe
	v_fma_f64 v[92:93], v[79:80], s[10:11], v[34:35]
	v_fma_f64 v[86:87], v[71:72], 2.0, -v[38:39]
	v_fma_f64 v[69:70], v[69:70], 2.0, -v[36:37]
	v_add_f64_e64 v[8:9], v[12:13], -v[16:17]
	v_add_f64_e64 v[10:11], v[14:15], -v[18:19]
	v_fma_f64 v[67:68], v[57:58], 2.0, -v[83:84]
	v_fma_f64 v[59:60], v[59:60], 2.0, -v[81:82]
	v_fma_f64 v[94:95], v[81:82], s[10:11], v[38:39]
	v_add_f64_e64 v[49:50], v[24:25], -v[28:29]
	v_add_f64_e64 v[51:52], v[26:27], -v[30:31]
	v_fma_f64 v[28:29], v[77:78], s[10:11], v[32:33]
	v_fma_f64 v[30:31], v[83:84], s[10:11], v[36:37]
	v_add_f64_e64 v[16:17], v[53:54], -v[61:62]
	v_add_f64_e64 v[18:19], v[55:56], -v[63:64]
	v_fma_f64 v[4:5], v[4:5], 2.0, -v[45:46]
	v_fma_f64 v[6:7], v[6:7], 2.0, -v[47:48]
	v_fma_f64 v[75:76], v[22:23], s[4:5], v[2:3]
	v_fma_f64 v[73:74], v[20:21], s[4:5], v[0:1]
	v_fma_f64 v[12:13], v[12:13], 2.0, -v[8:9]
	v_fma_f64 v[14:15], v[14:15], 2.0, -v[10:11]
	v_fma_f64 v[88:89], v[67:68], s[4:5], v[69:70]
	v_fma_f64 v[90:91], v[59:60], s[4:5], v[86:87]
	v_add_f64_e64 v[63:64], v[47:48], -v[8:9]
	v_fma_f64 v[83:84], v[83:84], s[4:5], v[94:95]
	v_fma_f64 v[24:25], v[24:25], 2.0, -v[49:50]
	v_fma_f64 v[26:27], v[26:27], 2.0, -v[51:52]
	v_fma_f64 v[57:58], v[79:80], s[10:11], v[28:29]
	v_fma_f64 v[71:72], v[81:82], s[10:11], v[30:31]
	v_fma_f64 v[96:97], v[53:54], 2.0, -v[16:17]
	v_fma_f64 v[98:99], v[55:56], 2.0, -v[18:19]
	v_add_f64_e32 v[55:56], v[45:46], v[10:11]
	v_add_f64_e32 v[61:62], v[49:50], v[18:19]
	v_add_f64_e64 v[65:66], v[51:52], -v[16:17]
	v_fma_f64 v[81:82], v[77:78], s[4:5], v[92:93]
	v_fma_f64 v[10:11], v[20:21], s[4:5], v[75:76]
	v_fma_f64 v[8:9], v[22:23], s[10:11], v[73:74]
	v_add_f64_e64 v[53:54], v[4:5], -v[12:13]
	v_fma_f64 v[16:17], v[59:60], s[10:11], v[88:89]
	v_fma_f64 v[18:19], v[67:68], s[4:5], v[90:91]
	v_add_f64_e64 v[59:60], v[6:7], -v[14:15]
	v_fma_f64 v[20:21], v[71:72], s[14:15], v[57:58]
	v_add_f64_e64 v[73:74], v[24:25], -v[96:97]
	v_add_f64_e64 v[75:76], v[26:27], -v[98:99]
	v_fma_f64 v[12:13], v[61:62], s[10:11], v[55:56]
	v_fma_f64 v[14:15], v[65:66], s[10:11], v[63:64]
	;; [unrolled: 1-line block ×3, first 2 shown]
	v_fma_f64 v[79:80], v[2:3], 2.0, -v[10:11]
	v_fma_f64 v[67:68], v[0:1], 2.0, -v[8:9]
	;; [unrolled: 1-line block ×4, first 2 shown]
	v_fma_f64 v[0:1], v[16:17], s[18:19], v[8:9]
	v_fma_f64 v[2:3], v[18:19], s[18:19], v[10:11]
	v_fma_f64 v[69:70], v[4:5], 2.0, -v[53:54]
	v_fma_f64 v[77:78], v[6:7], 2.0, -v[59:60]
	v_fma_f64 v[20:21], v[83:84], s[18:19], v[20:21]
	v_fma_f64 v[4:5], v[24:25], 2.0, -v[73:74]
	v_fma_f64 v[6:7], v[26:27], 2.0, -v[75:76]
	v_fma_f64 v[24:25], v[65:66], s[10:11], v[12:13]
	v_fma_f64 v[26:27], v[61:62], s[4:5], v[14:15]
	;; [unrolled: 1-line block ×7, first 2 shown]
	v_fma_f64 v[12:13], v[57:58], 2.0, -v[20:21]
	v_add_f64_e64 v[4:5], v[69:70], -v[4:5]
	v_add_f64_e64 v[6:7], v[77:78], -v[6:7]
	v_fma_f64 v[0:1], v[55:56], 2.0, -v[24:25]
	v_fma_f64 v[2:3], v[63:64], 2.0, -v[26:27]
	v_fma_f64 v[16:17], v[86:87], s[18:19], v[14:15]
	v_fma_f64 v[18:19], v[88:89], s[16:17], v[90:91]
	v_fma_f64 v[8:9], v[8:9], 2.0, -v[28:29]
	v_fma_f64 v[10:11], v[10:11], 2.0, -v[30:31]
	;; [unrolled: 1-line block ×3, first 2 shown]
	s_mov_b32 s18, exec_lo
	v_cmpx_gt_u32_e32 50, v44
	s_cbranch_execz .LBB0_23
; %bb.22:
	v_fma_f64 v[36:37], v[36:37], 2.0, -v[71:72]
	v_fma_f64 v[63:64], v[47:48], 2.0, -v[63:64]
	;; [unrolled: 1-line block ×8, first 2 shown]
	v_add_f64_e64 v[34:35], v[59:60], -v[73:74]
	v_add_f64_e32 v[32:33], v[53:54], v[75:76]
	v_fma_f64 v[57:58], v[77:78], 2.0, -v[6:7]
	v_fma_f64 v[45:46], v[51:52], s[4:5], v[63:64]
	v_fma_f64 v[49:50], v[47:48], s[4:5], v[71:72]
	;; [unrolled: 1-line block ×4, first 2 shown]
	v_fma_f64 v[61:62], v[59:60], 2.0, -v[34:35]
	v_fma_f64 v[59:60], v[53:54], 2.0, -v[32:33]
	v_mad_u32_u24 v53, 0xf0, v44, v85
	v_fma_f64 v[47:48], v[47:48], s[4:5], v[45:46]
	v_fma_f64 v[45:46], v[51:52], s[10:11], v[49:50]
	v_fma_f64 v[51:52], v[79:80], 2.0, -v[18:19]
	v_fma_f64 v[38:39], v[36:37], s[12:13], v[38:39]
	v_fma_f64 v[36:37], v[83:84], s[14:15], v[55:56]
	v_fma_f64 v[55:56], v[69:70], 2.0, -v[4:5]
	v_fma_f64 v[49:50], v[67:68], 2.0, -v[16:17]
	;; [unrolled: 1-line block ×6, first 2 shown]
	ds_store_b128 v53, v[0:3] offset:96
	ds_store_b128 v53, v[12:15] offset:112
	;; [unrolled: 1-line block ×4, first 2 shown]
	ds_store_b128 v53, v[55:58]
	ds_store_b128 v53, v[49:52] offset:16
	ds_store_b128 v53, v[32:35] offset:192
	ds_store_b128 v53, v[28:31] offset:208
	ds_store_b128 v53, v[59:62] offset:64
	ds_store_b128 v53, v[8:11] offset:80
	ds_store_b128 v53, v[45:48] offset:160
	ds_store_b128 v53, v[36:39] offset:176
	ds_store_b128 v53, v[67:70] offset:32
	ds_store_b128 v53, v[63:66] offset:48
	ds_store_b128 v53, v[24:27] offset:224
	ds_store_b128 v53, v[20:23] offset:240
.LBB0_23:
	s_wait_alu 0xfffe
	s_or_b32 exec_lo, exec_lo, s18
	v_and_b32_e32 v77, 15, v44
	global_wb scope:SCOPE_SE
	s_wait_dscnt 0x0
	s_barrier_signal -1
	s_barrier_wait -1
	global_inv scope:SCOPE_SE
	v_lshlrev_b32_e32 v32, 6, v77
	s_mov_b32 s4, 0x134454ff
	s_mov_b32 s5, 0xbfee6f0e
	;; [unrolled: 1-line block ×3, first 2 shown]
	s_wait_alu 0xfffe
	s_mov_b32 s10, s4
	s_clause 0x3
	global_load_b128 v[20:23], v32, s[8:9]
	global_load_b128 v[24:27], v32, s[8:9] offset:16
	global_load_b128 v[28:31], v32, s[8:9] offset:32
	;; [unrolled: 1-line block ×3, first 2 shown]
	ds_load_b128 v[36:39], v85 offset:2560
	ds_load_b128 v[45:48], v85 offset:5120
	;; [unrolled: 1-line block ×4, first 2 shown]
	s_wait_loadcnt_dscnt 0x303
	v_mul_f64_e32 v[57:58], v[38:39], v[22:23]
	s_wait_loadcnt_dscnt 0x202
	v_mul_f64_e32 v[59:60], v[47:48], v[26:27]
	;; [unrolled: 2-line block ×3, first 2 shown]
	v_mul_f64_e32 v[22:23], v[36:37], v[22:23]
	s_wait_loadcnt_dscnt 0x0
	v_mul_f64_e32 v[63:64], v[55:56], v[34:35]
	v_mul_f64_e32 v[26:27], v[45:46], v[26:27]
	;; [unrolled: 1-line block ×4, first 2 shown]
	v_fma_f64 v[36:37], v[36:37], v[20:21], v[57:58]
	v_fma_f64 v[45:46], v[45:46], v[24:25], v[59:60]
	;; [unrolled: 1-line block ×3, first 2 shown]
	v_fma_f64 v[38:39], v[38:39], v[20:21], -v[22:23]
	v_fma_f64 v[53:54], v[53:54], v[32:33], v[63:64]
	v_fma_f64 v[24:25], v[47:48], v[24:25], -v[26:27]
	v_fma_f64 v[26:27], v[51:52], v[28:29], -v[30:31]
	;; [unrolled: 1-line block ×3, first 2 shown]
	ds_load_b128 v[20:23], v85
	global_wb scope:SCOPE_SE
	s_wait_dscnt 0x0
	s_barrier_signal -1
	s_barrier_wait -1
	global_inv scope:SCOPE_SE
	v_add_f64_e32 v[51:52], v[20:21], v[36:37]
	v_add_f64_e32 v[30:31], v[45:46], v[49:50]
	;; [unrolled: 1-line block ×4, first 2 shown]
	v_add_f64_e64 v[61:62], v[36:37], -v[53:54]
	v_add_f64_e32 v[34:35], v[24:25], v[26:27]
	v_add_f64_e32 v[47:48], v[38:39], v[28:29]
	v_add_f64_e64 v[55:56], v[38:39], -v[28:29]
	v_add_f64_e64 v[57:58], v[24:25], -v[26:27]
	;; [unrolled: 1-line block ×8, first 2 shown]
	v_fma_f64 v[30:31], v[30:31], -0.5, v[20:21]
	v_add_f64_e32 v[24:25], v[59:60], v[24:25]
	v_fma_f64 v[20:21], v[32:33], -0.5, v[20:21]
	v_add_f64_e64 v[32:33], v[45:46], -v[49:50]
	v_fma_f64 v[34:35], v[34:35], -0.5, v[22:23]
	v_fma_f64 v[22:23], v[47:48], -0.5, v[22:23]
	v_add_f64_e64 v[47:48], v[36:37], -v[45:46]
	v_add_f64_e64 v[36:37], v[45:46], -v[36:37]
	v_add_f64_e32 v[45:46], v[51:52], v[45:46]
	v_add_f64_e32 v[38:39], v[38:39], v[71:72]
	v_fma_f64 v[51:52], v[55:56], s[4:5], v[30:31]
	s_wait_alu 0xfffe
	v_fma_f64 v[30:31], v[55:56], s[10:11], v[30:31]
	v_fma_f64 v[59:60], v[57:58], s[10:11], v[20:21]
	;; [unrolled: 1-line block ×7, first 2 shown]
	s_mov_b32 s4, 0x4755a5e
	s_mov_b32 s5, 0xbfe2cf23
	s_mov_b32 s11, 0x3fe2cf23
	s_wait_alu 0xfffe
	s_mov_b32 s10, s4
	v_add_f64_e32 v[47:48], v[47:48], v[63:64]
	v_add_f64_e32 v[36:37], v[36:37], v[65:66]
	;; [unrolled: 1-line block ×5, first 2 shown]
	v_fma_f64 v[26:27], v[57:58], s[4:5], v[51:52]
	s_wait_alu 0xfffe
	v_fma_f64 v[30:31], v[57:58], s[10:11], v[30:31]
	v_fma_f64 v[49:50], v[55:56], s[4:5], v[59:60]
	;; [unrolled: 1-line block ×7, first 2 shown]
	s_mov_b32 s4, 0x372fe950
	s_mov_b32 s5, 0x3fd3c6ef
	v_add_f64_e32 v[20:21], v[45:46], v[53:54]
	v_add_f64_e32 v[22:23], v[24:25], v[28:29]
	v_lshrrev_b32_e32 v45, 4, v44
	s_delay_alu instid0(VALU_DEP_1) | instskip(NEXT) | instid1(VALU_DEP_1)
	v_mul_u32_u24_e32 v45, 0x50, v45
	v_or_b32_e32 v45, v45, v77
	s_delay_alu instid0(VALU_DEP_1)
	v_lshl_add_u32 v45, v45, 4, 0
	s_wait_alu 0xfffe
	v_fma_f64 v[24:25], v[47:48], s[4:5], v[26:27]
	v_fma_f64 v[32:33], v[47:48], s[4:5], v[30:31]
	;; [unrolled: 1-line block ×8, first 2 shown]
	ds_store_b128 v45, v[20:23]
	ds_store_b128 v45, v[24:27] offset:256
	ds_store_b128 v45, v[28:31] offset:512
	ds_store_b128 v45, v[36:39] offset:768
	ds_store_b128 v45, v[32:35] offset:1024
	global_wb scope:SCOPE_SE
	s_wait_dscnt 0x0
	s_barrier_signal -1
	s_barrier_wait -1
	global_inv scope:SCOPE_SE
	s_and_saveexec_b32 s1, s0
	s_cbranch_execz .LBB0_25
; %bb.24:
	ds_load_b128 v[20:23], v85
	ds_load_b128 v[24:27], v85 offset:1280
	ds_load_b128 v[28:31], v85 offset:2560
	;; [unrolled: 1-line block ×9, first 2 shown]
.LBB0_25:
	s_wait_alu 0xfffe
	s_or_b32 exec_lo, exec_lo, s1
	global_wb scope:SCOPE_SE
	s_wait_dscnt 0x0
	s_barrier_signal -1
	s_barrier_wait -1
	global_inv scope:SCOPE_SE
	s_and_saveexec_b32 s12, s0
	s_cbranch_execz .LBB0_27
; %bb.26:
	v_dual_mov_b32 v46, 0 :: v_dual_add_nc_u32 v45, 0xffffffb0, v44
	s_mov_b32 s4, 0x134454ff
	s_mov_b32 s5, 0xbfee6f0e
	;; [unrolled: 1-line block ×3, first 2 shown]
	s_delay_alu instid0(VALU_DEP_1)
	v_cndmask_b32_e64 v45, v45, v44, s0
	s_mov_b32 s10, 0x4755a5e
	s_mov_b32 s11, 0xbfe2cf23
	;; [unrolled: 1-line block ×4, first 2 shown]
	v_mul_i32_i24_e32 v45, 9, v45
	s_mov_b32 s16, 0x9b97f4a8
	s_mov_b32 s17, 0xbfe9e377
	;; [unrolled: 1-line block ×3, first 2 shown]
	s_wait_alu 0xfffe
	s_mov_b32 s20, s16
	v_lshlrev_b64_e32 v[45:46], 4, v[45:46]
	s_mov_b32 s19, 0xbfd3c6ef
	s_mov_b32 s18, s14
	s_delay_alu instid0(VALU_DEP_1) | instskip(SKIP_1) | instid1(VALU_DEP_2)
	v_add_co_u32 v77, s0, s8, v45
	s_wait_alu 0xf1ff
	v_add_co_ci_u32_e64 v78, s0, s9, v46, s0
	s_mov_b32 s0, s4
	s_mov_b32 s9, 0x3fe2cf23
	;; [unrolled: 1-line block ×3, first 2 shown]
	s_clause 0x8
	global_load_b128 v[45:48], v[77:78], off offset:1056
	global_load_b128 v[49:52], v[77:78], off offset:1152
	;; [unrolled: 1-line block ×9, first 2 shown]
	s_wait_loadcnt 0x8
	v_mul_f64_e32 v[81:82], v[38:39], v[47:48]
	v_mul_f64_e32 v[47:48], v[36:37], v[47:48]
	s_wait_loadcnt 0x7
	v_mul_f64_e32 v[83:84], v[16:17], v[51:52]
	s_wait_loadcnt 0x6
	;; [unrolled: 2-line block ×3, first 2 shown]
	v_mul_f64_e32 v[88:89], v[12:13], v[59:60]
	v_mul_f64_e32 v[55:56], v[10:11], v[55:56]
	v_fma_f64 v[36:37], v[36:37], v[45:46], v[81:82]
	v_fma_f64 v[38:39], v[38:39], v[45:46], -v[47:48]
	v_mul_f64_e32 v[45:46], v[18:19], v[51:52]
	v_mul_f64_e32 v[47:48], v[14:15], v[59:60]
	s_wait_loadcnt 0x4
	v_mul_f64_e32 v[51:52], v[24:25], v[63:64]
	v_fma_f64 v[18:19], v[18:19], v[49:50], -v[83:84]
	v_fma_f64 v[10:11], v[10:11], v[53:54], -v[86:87]
	;; [unrolled: 1-line block ×3, first 2 shown]
	s_wait_loadcnt 0x3
	v_mul_f64_e32 v[59:60], v[28:29], v[67:68]
	v_fma_f64 v[8:9], v[8:9], v[53:54], v[55:56]
	s_wait_loadcnt 0x2
	v_mul_f64_e32 v[53:54], v[32:33], v[71:72]
	s_wait_loadcnt 0x1
	v_mul_f64_e32 v[55:56], v[4:5], v[75:76]
	;; [unrolled: 2-line block ×3, first 2 shown]
	v_mul_f64_e32 v[67:68], v[30:31], v[67:68]
	v_mul_f64_e32 v[63:64], v[26:27], v[63:64]
	v_fma_f64 v[16:17], v[16:17], v[49:50], v[45:46]
	v_mul_f64_e32 v[45:46], v[34:35], v[71:72]
	v_mul_f64_e32 v[49:50], v[2:3], v[79:80]
	;; [unrolled: 1-line block ×3, first 2 shown]
	v_fma_f64 v[12:13], v[12:13], v[57:58], v[47:48]
	v_fma_f64 v[26:27], v[26:27], v[61:62], -v[51:52]
	v_add_f64_e32 v[47:48], v[38:39], v[18:19]
	v_add_f64_e32 v[51:52], v[10:11], v[14:15]
	v_fma_f64 v[30:31], v[30:31], v[65:66], -v[59:60]
	v_fma_f64 v[34:35], v[34:35], v[69:70], -v[53:54]
	;; [unrolled: 1-line block ×4, first 2 shown]
	v_fma_f64 v[28:29], v[28:29], v[65:66], v[67:68]
	v_fma_f64 v[24:25], v[24:25], v[61:62], v[63:64]
	v_add_f64_e64 v[65:66], v[10:11], -v[14:15]
	v_add_f64_e64 v[67:68], v[10:11], -v[38:39]
	;; [unrolled: 1-line block ×6, first 2 shown]
	v_fma_f64 v[32:33], v[32:33], v[69:70], v[45:46]
	v_fma_f64 v[0:1], v[0:1], v[77:78], v[49:50]
	;; [unrolled: 1-line block ×3, first 2 shown]
	v_add_f64_e32 v[45:46], v[36:37], v[16:17]
	v_add_f64_e64 v[49:50], v[8:9], -v[12:13]
	v_fma_f64 v[47:48], v[47:48], -0.5, v[26:27]
	v_add_f64_e32 v[53:54], v[8:9], v[12:13]
	v_fma_f64 v[51:52], v[51:52], -0.5, v[26:27]
	v_add_f64_e64 v[69:70], v[14:15], -v[18:19]
	v_add_f64_e32 v[59:60], v[30:31], v[6:7]
	v_add_f64_e32 v[57:58], v[34:35], v[2:3]
	v_add_f64_e64 v[73:74], v[38:39], -v[18:19]
	v_add_f64_e64 v[77:78], v[18:19], -v[14:15]
	;; [unrolled: 1-line block ×3, first 2 shown]
	v_add_f64_e32 v[90:91], v[22:23], v[30:31]
	v_add_f64_e32 v[26:27], v[26:27], v[38:39]
	v_add_f64_e64 v[83:84], v[16:17], -v[12:13]
	v_add_f64_e32 v[61:62], v[32:33], v[0:1]
	v_add_f64_e32 v[63:64], v[28:29], v[4:5]
	v_fma_f64 v[45:46], v[45:46], -0.5, v[24:25]
	v_add_f64_e64 v[92:93], v[28:29], -v[4:5]
	s_wait_alu 0xfffe
	v_fma_f64 v[71:72], v[49:50], s[0:1], v[47:48]
	v_fma_f64 v[53:54], v[53:54], -0.5, v[24:25]
	v_fma_f64 v[79:80], v[55:56], s[4:5], v[51:52]
	v_fma_f64 v[51:52], v[55:56], s[0:1], v[51:52]
	;; [unrolled: 1-line block ×3, first 2 shown]
	v_add_f64_e32 v[24:25], v[24:25], v[36:37]
	v_add_f64_e32 v[36:37], v[20:21], v[28:29]
	v_fma_f64 v[57:58], v[57:58], -0.5, v[22:23]
	v_fma_f64 v[22:23], v[59:60], -0.5, v[22:23]
	v_add_f64_e32 v[67:68], v[67:68], v[69:70]
	v_add_f64_e32 v[75:76], v[75:76], v[77:78]
	v_add_f64_e64 v[38:39], v[32:33], -v[0:1]
	v_add_f64_e32 v[86:87], v[86:87], v[88:89]
	v_add_f64_e64 v[88:89], v[28:29], -v[32:33]
	v_add_f64_e64 v[28:29], v[32:33], -v[28:29]
	v_add_f64_e32 v[10:11], v[26:27], v[10:11]
	v_add_f64_e32 v[81:82], v[81:82], v[83:84]
	v_add_f64_e64 v[26:27], v[0:1], -v[4:5]
	v_add_f64_e64 v[83:84], v[2:3], -v[6:7]
	v_fma_f64 v[59:60], v[61:62], -0.5, v[20:21]
	v_fma_f64 v[20:21], v[63:64], -0.5, v[20:21]
	v_add_f64_e64 v[61:62], v[30:31], -v[6:7]
	v_fma_f64 v[63:64], v[65:66], s[4:5], v[45:46]
	v_fma_f64 v[45:46], v[65:66], s[0:1], v[45:46]
	v_fma_f64 v[69:70], v[55:56], s[10:11], v[71:72]
	v_fma_f64 v[71:72], v[73:74], s[0:1], v[53:54]
	v_fma_f64 v[77:78], v[49:50], s[10:11], v[79:80]
	v_fma_f64 v[53:54], v[73:74], s[4:5], v[53:54]
	v_fma_f64 v[49:50], v[49:50], s[8:9], v[51:52]
	v_fma_f64 v[47:48], v[55:56], s[8:9], v[47:48]
	v_add_f64_e64 v[55:56], v[34:35], -v[2:3]
	v_add_f64_e64 v[51:52], v[30:31], -v[34:35]
	;; [unrolled: 1-line block ×3, first 2 shown]
	v_add_f64_e32 v[34:35], v[90:91], v[34:35]
	v_add_f64_e32 v[32:33], v[36:37], v[32:33]
	;; [unrolled: 1-line block ×3, first 2 shown]
	v_add_f64_e64 v[79:80], v[6:7], -v[2:3]
	v_add_f64_e64 v[90:91], v[4:5], -v[0:1]
	v_fma_f64 v[24:25], v[92:93], s[4:5], v[57:58]
	v_fma_f64 v[57:58], v[92:93], s[0:1], v[57:58]
	;; [unrolled: 1-line block ×4, first 2 shown]
	v_add_f64_e32 v[10:11], v[10:11], v[14:15]
	v_add_f64_e32 v[26:27], v[28:29], v[26:27]
	v_fma_f64 v[63:64], v[73:74], s[8:9], v[63:64]
	v_fma_f64 v[45:46], v[73:74], s[10:11], v[45:46]
	;; [unrolled: 1-line block ×12, first 2 shown]
	v_add_f64_e32 v[2:3], v[34:35], v[2:3]
	v_add_f64_e32 v[0:1], v[32:33], v[0:1]
	;; [unrolled: 1-line block ×5, first 2 shown]
	v_fma_f64 v[12:13], v[38:39], s[10:11], v[24:25]
	v_fma_f64 v[24:25], v[38:39], s[8:9], v[57:58]
	v_add_f64_e32 v[30:31], v[30:31], v[83:84]
	v_fma_f64 v[14:15], v[92:93], s[10:11], v[36:37]
	v_fma_f64 v[22:23], v[92:93], s[8:9], v[22:23]
	v_add_f64_e32 v[10:11], v[10:11], v[18:19]
	v_fma_f64 v[36:37], v[86:87], s[14:15], v[63:64]
	v_fma_f64 v[38:39], v[86:87], s[14:15], v[45:46]
	;; [unrolled: 1-line block ×4, first 2 shown]
	v_mul_f64_e32 v[57:58], s[18:19], v[69:70]
	v_fma_f64 v[53:54], v[81:82], s[14:15], v[53:54]
	v_mul_f64_e32 v[59:60], s[20:21], v[49:50]
	v_mul_f64_e32 v[49:50], s[10:11], v[49:50]
	;; [unrolled: 1-line block ×3, first 2 shown]
	v_fma_f64 v[20:21], v[61:62], s[10:11], v[20:21]
	v_mul_f64_e32 v[47:48], s[4:5], v[47:48]
	v_fma_f64 v[32:33], v[61:62], s[8:9], v[67:68]
	v_fma_f64 v[34:35], v[81:82], s[14:15], v[71:72]
	v_mul_f64_e32 v[45:46], s[16:17], v[77:78]
	v_mul_f64_e32 v[61:62], s[4:5], v[69:70]
	;; [unrolled: 1-line block ×3, first 2 shown]
	v_add_f64_e32 v[6:7], v[2:3], v[6:7]
	v_add_f64_e32 v[4:5], v[0:1], v[4:5]
	;; [unrolled: 1-line block ×3, first 2 shown]
	v_fma_f64 v[12:13], v[51:52], s[14:15], v[12:13]
	v_fma_f64 v[51:52], v[51:52], s[14:15], v[24:25]
	;; [unrolled: 1-line block ×16, first 2 shown]
	v_add_f64_e64 v[2:3], v[6:7], -v[10:11]
	v_add_f64_e64 v[0:1], v[4:5], -v[8:9]
	v_add_f64_e32 v[6:7], v[6:7], v[10:11]
	v_add_f64_e32 v[4:5], v[4:5], v[8:9]
	v_add_f64_e64 v[14:15], v[16:17], -v[24:25]
	v_add_f64_e32 v[26:27], v[16:17], v[24:25]
	v_add_f64_e32 v[34:35], v[51:52], v[59:60]
	;; [unrolled: 1-line block ×3, first 2 shown]
	v_add_f64_e64 v[18:19], v[30:31], -v[28:29]
	v_add_f64_e32 v[30:31], v[30:31], v[28:29]
	v_add_f64_e32 v[28:29], v[57:58], v[47:48]
	v_add_f64_e64 v[38:39], v[51:52], -v[59:60]
	v_add_f64_e64 v[36:37], v[55:56], -v[49:50]
	;; [unrolled: 1-line block ×3, first 2 shown]
	v_add_f64_e32 v[22:23], v[12:13], v[22:23]
	v_add_f64_e32 v[24:25], v[45:46], v[53:54]
	;; [unrolled: 1-line block ×3, first 2 shown]
	v_add_f64_e64 v[16:17], v[57:58], -v[47:48]
	v_add_f64_e64 v[12:13], v[45:46], -v[53:54]
	;; [unrolled: 1-line block ×3, first 2 shown]
	ds_store_b128 v85, v[4:7]
	ds_store_b128 v85, v[32:35] offset:1280
	ds_store_b128 v85, v[28:31] offset:2560
	;; [unrolled: 1-line block ×9, first 2 shown]
.LBB0_27:
	s_wait_alu 0xfffe
	s_or_b32 exec_lo, exec_lo, s12
	global_wb scope:SCOPE_SE
	s_wait_dscnt 0x0
	s_barrier_signal -1
	s_barrier_wait -1
	global_inv scope:SCOPE_SE
	s_and_saveexec_b32 s0, vcc_lo
	s_cbranch_execz .LBB0_29
; %bb.28:
	v_mul_lo_u32 v2, s3, v42
	v_mul_lo_u32 v3, s2, v43
	v_mad_co_u64_u32 v[0:1], null, s2, v42, 0
	v_dual_mov_b32 v45, 0 :: v_dual_add_nc_u32 v10, 0xa0, v44
	v_lshlrev_b64_e32 v[8:9], 4, v[40:41]
	v_add_nc_u32_e32 v12, 0x140, v44
	v_lshl_add_u32 v17, v44, 4, 0
	s_delay_alu instid0(VALU_DEP_4) | instskip(SKIP_4) | instid1(VALU_DEP_4)
	v_mov_b32_e32 v11, v45
	v_add3_u32 v1, v1, v3, v2
	v_lshlrev_b64_e32 v[15:16], 4, v[44:45]
	v_dual_mov_b32 v25, v45 :: v_dual_add_nc_u32 v24, 0x1e0, v44
	v_add_nc_u32_e32 v44, 0x280, v44
	v_lshlrev_b64_e32 v[13:14], 4, v[0:1]
	ds_load_b128 v[0:3], v17
	ds_load_b128 v[4:7], v17 offset:2560
	v_lshlrev_b64_e32 v[24:25], 4, v[24:25]
	v_lshlrev_b64_e32 v[28:29], 4, v[44:45]
	v_add_co_u32 v18, vcc_lo, s6, v13
	s_wait_alu 0xfffd
	v_add_co_ci_u32_e32 v14, vcc_lo, s7, v14, vcc_lo
	v_mov_b32_e32 v13, v45
	s_delay_alu instid0(VALU_DEP_3) | instskip(SKIP_1) | instid1(VALU_DEP_3)
	v_add_co_u32 v30, vcc_lo, v18, v8
	s_wait_alu 0xfffd
	v_add_co_ci_u32_e32 v31, vcc_lo, v14, v9, vcc_lo
	v_lshlrev_b64_e32 v[8:9], 4, v[10:11]
	s_delay_alu instid0(VALU_DEP_3) | instskip(SKIP_1) | instid1(VALU_DEP_3)
	v_add_co_u32 v20, vcc_lo, v30, v15
	s_wait_alu 0xfffd
	v_add_co_ci_u32_e32 v21, vcc_lo, v31, v16, vcc_lo
	v_lshlrev_b64_e32 v[26:27], 4, v[12:13]
	s_delay_alu instid0(VALU_DEP_4)
	v_add_co_u32 v22, vcc_lo, v30, v8
	s_wait_alu 0xfffd
	v_add_co_ci_u32_e32 v23, vcc_lo, v31, v9, vcc_lo
	ds_load_b128 v[8:11], v17 offset:5120
	ds_load_b128 v[12:15], v17 offset:7680
	;; [unrolled: 1-line block ×3, first 2 shown]
	v_add_co_u32 v26, vcc_lo, v30, v26
	s_wait_alu 0xfffd
	v_add_co_ci_u32_e32 v27, vcc_lo, v31, v27, vcc_lo
	v_add_co_u32 v24, vcc_lo, v30, v24
	s_wait_alu 0xfffd
	v_add_co_ci_u32_e32 v25, vcc_lo, v31, v25, vcc_lo
	;; [unrolled: 3-line block ×3, first 2 shown]
	s_wait_dscnt 0x4
	global_store_b128 v[20:21], v[0:3], off
	s_wait_dscnt 0x3
	global_store_b128 v[22:23], v[4:7], off
	;; [unrolled: 2-line block ×5, first 2 shown]
.LBB0_29:
	s_nop 0
	s_sendmsg sendmsg(MSG_DEALLOC_VGPRS)
	s_endpgm
	.section	.rodata,"a",@progbits
	.p2align	6, 0x0
	.amdhsa_kernel fft_rtc_back_len800_factors_16_5_10_wgs_160_tpt_160_halfLds_dp_op_CI_CI_unitstride_sbrr_C2R_dirReg
		.amdhsa_group_segment_fixed_size 0
		.amdhsa_private_segment_fixed_size 0
		.amdhsa_kernarg_size 104
		.amdhsa_user_sgpr_count 2
		.amdhsa_user_sgpr_dispatch_ptr 0
		.amdhsa_user_sgpr_queue_ptr 0
		.amdhsa_user_sgpr_kernarg_segment_ptr 1
		.amdhsa_user_sgpr_dispatch_id 0
		.amdhsa_user_sgpr_private_segment_size 0
		.amdhsa_wavefront_size32 1
		.amdhsa_uses_dynamic_stack 0
		.amdhsa_enable_private_segment 0
		.amdhsa_system_sgpr_workgroup_id_x 1
		.amdhsa_system_sgpr_workgroup_id_y 0
		.amdhsa_system_sgpr_workgroup_id_z 0
		.amdhsa_system_sgpr_workgroup_info 0
		.amdhsa_system_vgpr_workitem_id 0
		.amdhsa_next_free_vgpr 100
		.amdhsa_next_free_sgpr 39
		.amdhsa_reserve_vcc 1
		.amdhsa_float_round_mode_32 0
		.amdhsa_float_round_mode_16_64 0
		.amdhsa_float_denorm_mode_32 3
		.amdhsa_float_denorm_mode_16_64 3
		.amdhsa_fp16_overflow 0
		.amdhsa_workgroup_processor_mode 1
		.amdhsa_memory_ordered 1
		.amdhsa_forward_progress 0
		.amdhsa_round_robin_scheduling 0
		.amdhsa_exception_fp_ieee_invalid_op 0
		.amdhsa_exception_fp_denorm_src 0
		.amdhsa_exception_fp_ieee_div_zero 0
		.amdhsa_exception_fp_ieee_overflow 0
		.amdhsa_exception_fp_ieee_underflow 0
		.amdhsa_exception_fp_ieee_inexact 0
		.amdhsa_exception_int_div_zero 0
	.end_amdhsa_kernel
	.text
.Lfunc_end0:
	.size	fft_rtc_back_len800_factors_16_5_10_wgs_160_tpt_160_halfLds_dp_op_CI_CI_unitstride_sbrr_C2R_dirReg, .Lfunc_end0-fft_rtc_back_len800_factors_16_5_10_wgs_160_tpt_160_halfLds_dp_op_CI_CI_unitstride_sbrr_C2R_dirReg
                                        ; -- End function
	.section	.AMDGPU.csdata,"",@progbits
; Kernel info:
; codeLenInByte = 7120
; NumSgprs: 41
; NumVgprs: 100
; ScratchSize: 0
; MemoryBound: 0
; FloatMode: 240
; IeeeMode: 1
; LDSByteSize: 0 bytes/workgroup (compile time only)
; SGPRBlocks: 5
; VGPRBlocks: 12
; NumSGPRsForWavesPerEU: 41
; NumVGPRsForWavesPerEU: 100
; Occupancy: 12
; WaveLimiterHint : 1
; COMPUTE_PGM_RSRC2:SCRATCH_EN: 0
; COMPUTE_PGM_RSRC2:USER_SGPR: 2
; COMPUTE_PGM_RSRC2:TRAP_HANDLER: 0
; COMPUTE_PGM_RSRC2:TGID_X_EN: 1
; COMPUTE_PGM_RSRC2:TGID_Y_EN: 0
; COMPUTE_PGM_RSRC2:TGID_Z_EN: 0
; COMPUTE_PGM_RSRC2:TIDIG_COMP_CNT: 0
	.text
	.p2alignl 7, 3214868480
	.fill 96, 4, 3214868480
	.type	__hip_cuid_9bfb4b2302f2d2ce,@object ; @__hip_cuid_9bfb4b2302f2d2ce
	.section	.bss,"aw",@nobits
	.globl	__hip_cuid_9bfb4b2302f2d2ce
__hip_cuid_9bfb4b2302f2d2ce:
	.byte	0                               ; 0x0
	.size	__hip_cuid_9bfb4b2302f2d2ce, 1

	.ident	"AMD clang version 19.0.0git (https://github.com/RadeonOpenCompute/llvm-project roc-6.4.0 25133 c7fe45cf4b819c5991fe208aaa96edf142730f1d)"
	.section	".note.GNU-stack","",@progbits
	.addrsig
	.addrsig_sym __hip_cuid_9bfb4b2302f2d2ce
	.amdgpu_metadata
---
amdhsa.kernels:
  - .args:
      - .actual_access:  read_only
        .address_space:  global
        .offset:         0
        .size:           8
        .value_kind:     global_buffer
      - .offset:         8
        .size:           8
        .value_kind:     by_value
      - .actual_access:  read_only
        .address_space:  global
        .offset:         16
        .size:           8
        .value_kind:     global_buffer
      - .actual_access:  read_only
        .address_space:  global
        .offset:         24
        .size:           8
        .value_kind:     global_buffer
      - .actual_access:  read_only
        .address_space:  global
        .offset:         32
        .size:           8
        .value_kind:     global_buffer
      - .offset:         40
        .size:           8
        .value_kind:     by_value
      - .actual_access:  read_only
        .address_space:  global
        .offset:         48
        .size:           8
        .value_kind:     global_buffer
      - .actual_access:  read_only
        .address_space:  global
        .offset:         56
        .size:           8
        .value_kind:     global_buffer
      - .offset:         64
        .size:           4
        .value_kind:     by_value
      - .actual_access:  read_only
        .address_space:  global
        .offset:         72
        .size:           8
        .value_kind:     global_buffer
      - .actual_access:  read_only
        .address_space:  global
        .offset:         80
        .size:           8
        .value_kind:     global_buffer
      - .actual_access:  read_only
        .address_space:  global
        .offset:         88
        .size:           8
        .value_kind:     global_buffer
      - .actual_access:  write_only
        .address_space:  global
        .offset:         96
        .size:           8
        .value_kind:     global_buffer
    .group_segment_fixed_size: 0
    .kernarg_segment_align: 8
    .kernarg_segment_size: 104
    .language:       OpenCL C
    .language_version:
      - 2
      - 0
    .max_flat_workgroup_size: 160
    .name:           fft_rtc_back_len800_factors_16_5_10_wgs_160_tpt_160_halfLds_dp_op_CI_CI_unitstride_sbrr_C2R_dirReg
    .private_segment_fixed_size: 0
    .sgpr_count:     41
    .sgpr_spill_count: 0
    .symbol:         fft_rtc_back_len800_factors_16_5_10_wgs_160_tpt_160_halfLds_dp_op_CI_CI_unitstride_sbrr_C2R_dirReg.kd
    .uniform_work_group_size: 1
    .uses_dynamic_stack: false
    .vgpr_count:     100
    .vgpr_spill_count: 0
    .wavefront_size: 32
    .workgroup_processor_mode: 1
amdhsa.target:   amdgcn-amd-amdhsa--gfx1201
amdhsa.version:
  - 1
  - 2
...

	.end_amdgpu_metadata
